;; amdgpu-corpus repo=ROCm/rocFFT kind=compiled arch=gfx1030 opt=O3
	.text
	.amdgcn_target "amdgcn-amd-amdhsa--gfx1030"
	.amdhsa_code_object_version 6
	.protected	fft_rtc_fwd_len200_factors_5_8_5_wgs_400_tpt_40_half_op_CI_CI_sbcc_twdbase5_3step_dirReg ; -- Begin function fft_rtc_fwd_len200_factors_5_8_5_wgs_400_tpt_40_half_op_CI_CI_sbcc_twdbase5_3step_dirReg
	.globl	fft_rtc_fwd_len200_factors_5_8_5_wgs_400_tpt_40_half_op_CI_CI_sbcc_twdbase5_3step_dirReg
	.p2align	8
	.type	fft_rtc_fwd_len200_factors_5_8_5_wgs_400_tpt_40_half_op_CI_CI_sbcc_twdbase5_3step_dirReg,@function
fft_rtc_fwd_len200_factors_5_8_5_wgs_400_tpt_40_half_op_CI_CI_sbcc_twdbase5_3step_dirReg: ; @fft_rtc_fwd_len200_factors_5_8_5_wgs_400_tpt_40_half_op_CI_CI_sbcc_twdbase5_3step_dirReg
; %bb.0:
	s_clause 0x1
	s_load_dwordx8 s[8:15], s[4:5], 0x8
	s_load_dwordx2 s[26:27], s[4:5], 0x28
	s_mov_b32 s0, exec_lo
	v_cmpx_gt_u32_e32 0x60, v0
	s_cbranch_execz .LBB0_2
; %bb.1:
	v_lshlrev_b32_e32 v1, 2, v0
	s_waitcnt lgkmcnt(0)
	global_load_dword v2, v1, s[8:9]
	v_add_nc_u32_e32 v1, 0, v1
	s_waitcnt vmcnt(0)
	ds_write_b32 v1, v2 offset:8000
.LBB0_2:
	s_or_b32 exec_lo, exec_lo, s0
	s_waitcnt lgkmcnt(0)
	s_load_dwordx2 s[28:29], s[12:13], 0x8
	s_mov_b64 s[24:25], 0
	s_waitcnt lgkmcnt(0)
	s_add_u32 s0, s28, -1
	s_addc_u32 s1, s29, -1
	s_add_u32 s2, 0, 0x99986000
	s_addc_u32 s3, 0, 0x59
	s_mul_hi_u32 s8, s2, -10
	s_add_i32 s3, s3, 0x19999940
	s_sub_i32 s8, s8, s2
	s_mul_i32 s16, s3, -10
	s_mul_i32 s7, s2, -10
	s_add_i32 s8, s8, s16
	s_mul_hi_u32 s9, s2, s7
	s_mul_i32 s18, s2, s8
	s_mul_hi_u32 s16, s2, s8
	s_mul_hi_u32 s17, s3, s7
	s_mul_i32 s7, s3, s7
	s_add_u32 s9, s9, s18
	s_addc_u32 s16, 0, s16
	s_mul_hi_u32 s19, s3, s8
	s_add_u32 s7, s9, s7
	s_mul_i32 s8, s3, s8
	s_addc_u32 s7, s16, s17
	s_addc_u32 s9, s19, 0
	s_add_u32 s7, s7, s8
	v_add_co_u32 v1, s2, s2, s7
	s_addc_u32 s7, 0, s9
	s_cmp_lg_u32 s2, 0
	s_addc_u32 s2, s3, s7
	v_readfirstlane_b32 s3, v1
	s_mul_i32 s8, s0, s2
	s_mul_hi_u32 s7, s0, s2
	s_mul_hi_u32 s9, s1, s2
	s_mul_i32 s2, s1, s2
	s_mul_hi_u32 s16, s0, s3
	s_mul_hi_u32 s17, s1, s3
	s_mul_i32 s3, s1, s3
	s_add_u32 s8, s16, s8
	s_addc_u32 s7, 0, s7
	s_add_u32 s3, s8, s3
	s_addc_u32 s3, s7, s17
	s_addc_u32 s7, s9, 0
	s_add_u32 s2, s3, s2
	s_addc_u32 s3, 0, s7
	s_mul_i32 s8, s2, 10
	s_add_u32 s7, s2, 1
	v_sub_co_u32 v1, s0, s0, s8
	s_mul_hi_u32 s8, s2, 10
	s_addc_u32 s9, s3, 0
	s_mul_i32 s16, s3, 10
	v_sub_co_u32 v2, s17, v1, 10
	s_add_u32 s18, s2, 2
	s_addc_u32 s19, s3, 0
	s_add_i32 s8, s8, s16
	s_cmp_lg_u32 s0, 0
	v_readfirstlane_b32 s0, v2
	s_subb_u32 s1, s1, s8
	s_cmp_lg_u32 s17, 0
	s_subb_u32 s8, s1, 0
	s_cmp_gt_u32 s0, 9
	s_cselect_b32 s0, -1, 0
	s_cmp_eq_u32 s8, 0
	v_readfirstlane_b32 s8, v1
	s_cselect_b32 s0, s0, -1
	s_cmp_lg_u32 s0, 0
	s_cselect_b32 s0, s18, s7
	s_cselect_b32 s9, s19, s9
	s_cmp_gt_u32 s8, 9
	s_cselect_b32 s7, -1, 0
	s_cmp_eq_u32 s1, 0
	s_cselect_b32 s1, s7, -1
	s_mov_b32 s7, 0
	s_cmp_lg_u32 s1, 0
	s_cselect_b32 s0, s0, s2
	s_cselect_b32 s1, s9, s3
	s_add_u32 s34, s0, 1
	s_addc_u32 s35, s1, 0
	v_cmp_lt_u64_e64 s0, s[6:7], s[34:35]
	s_and_b32 vcc_lo, exec_lo, s0
	s_cbranch_vccnz .LBB0_4
; %bb.3:
	v_cvt_f32_u32_e32 v1, s34
	s_sub_i32 s1, 0, s34
	s_mov_b32 s25, s7
	v_rcp_iflag_f32_e32 v1, v1
	v_mul_f32_e32 v1, 0x4f7ffffe, v1
	v_cvt_u32_f32_e32 v1, v1
	v_readfirstlane_b32 s0, v1
	s_mul_i32 s1, s1, s0
	s_mul_hi_u32 s1, s0, s1
	s_add_i32 s0, s0, s1
	s_mul_hi_u32 s0, s6, s0
	s_mul_i32 s1, s0, s34
	s_add_i32 s2, s0, 1
	s_sub_i32 s1, s6, s1
	s_sub_i32 s3, s1, s34
	s_cmp_ge_u32 s1, s34
	s_cselect_b32 s0, s2, s0
	s_cselect_b32 s1, s3, s1
	s_add_i32 s2, s0, 1
	s_cmp_ge_u32 s1, s34
	s_cselect_b32 s24, s2, s0
.LBB0_4:
	s_load_dwordx4 s[20:23], s[14:15], 0x0
	s_load_dwordx4 s[0:3], s[26:27], 0x0
	s_clause 0x1
	s_load_dwordx4 s[16:19], s[4:5], 0x60
	s_load_dwordx2 s[8:9], s[4:5], 0x0
	s_mul_i32 s4, s24, s35
	s_mul_hi_u32 s5, s24, s34
	s_mul_i32 s30, s24, s34
	s_add_i32 s5, s5, s4
	s_sub_u32 s48, s6, s30
	s_subb_u32 s4, 0, s5
	s_mul_hi_u32 s33, s48, 10
	s_mul_i32 s4, s4, 10
	v_cmp_lt_u64_e64 s36, s[10:11], 3
	s_add_i32 s33, s33, s4
	s_mul_i32 s48, s48, 10
	s_and_b32 vcc_lo, exec_lo, s36
	s_waitcnt lgkmcnt(0)
	s_mul_i32 s4, s22, s33
	s_mul_hi_u32 s5, s22, s48
	s_mul_i32 s37, s2, s33
	s_mul_hi_u32 s38, s2, s48
	s_mul_i32 s31, s23, s48
	s_mul_i32 s39, s3, s48
	s_add_i32 s4, s5, s4
	s_add_i32 s5, s38, s37
	s_mul_i32 s30, s22, s48
	s_add_i32 s31, s4, s31
	s_add_i32 s5, s5, s39
	s_mul_i32 s4, s2, s48
	s_cbranch_vccnz .LBB0_14
; %bb.5:
	s_add_u32 s36, s26, 16
	s_addc_u32 s37, s27, 0
	s_add_u32 s38, s14, 16
	s_addc_u32 s39, s15, 0
	;; [unrolled: 2-line block ×3, first 2 shown]
	s_mov_b64 s[40:41], 2
	s_mov_b32 s42, 0
.LBB0_6:                                ; =>This Inner Loop Header: Depth=1
	s_load_dwordx2 s[44:45], s[12:13], 0x0
	s_waitcnt lgkmcnt(0)
	s_or_b64 s[46:47], s[24:25], s[44:45]
	s_mov_b32 s43, s47
                                        ; implicit-def: $sgpr46_sgpr47
	s_cmp_lg_u64 s[42:43], 0
	s_mov_b32 s43, -1
	s_cbranch_scc0 .LBB0_8
; %bb.7:                                ;   in Loop: Header=BB0_6 Depth=1
	v_cvt_f32_u32_e32 v1, s44
	v_cvt_f32_u32_e32 v2, s45
	s_sub_u32 s47, 0, s44
	s_subb_u32 s49, 0, s45
	v_fmac_f32_e32 v1, 0x4f800000, v2
	v_rcp_f32_e32 v1, v1
	v_mul_f32_e32 v1, 0x5f7ffffc, v1
	v_mul_f32_e32 v2, 0x2f800000, v1
	v_trunc_f32_e32 v2, v2
	v_fmac_f32_e32 v1, 0xcf800000, v2
	v_cvt_u32_f32_e32 v2, v2
	v_cvt_u32_f32_e32 v1, v1
	v_readfirstlane_b32 s43, v2
	v_readfirstlane_b32 s46, v1
	s_mul_i32 s50, s47, s43
	s_mul_hi_u32 s52, s47, s46
	s_mul_i32 s51, s49, s46
	s_add_i32 s50, s52, s50
	s_mul_i32 s53, s47, s46
	s_add_i32 s50, s50, s51
	s_mul_hi_u32 s52, s46, s53
	s_mul_hi_u32 s54, s43, s53
	s_mul_i32 s51, s43, s53
	s_mul_hi_u32 s53, s46, s50
	s_mul_i32 s46, s46, s50
	s_mul_hi_u32 s55, s43, s50
	s_add_u32 s46, s52, s46
	s_addc_u32 s52, 0, s53
	s_add_u32 s46, s46, s51
	s_mul_i32 s50, s43, s50
	s_addc_u32 s46, s52, s54
	s_addc_u32 s51, s55, 0
	s_add_u32 s46, s46, s50
	s_addc_u32 s50, 0, s51
	v_add_co_u32 v1, s46, v1, s46
	s_cmp_lg_u32 s46, 0
	s_addc_u32 s43, s43, s50
	v_readfirstlane_b32 s46, v1
	s_mul_i32 s50, s47, s43
	s_mul_hi_u32 s51, s47, s46
	s_mul_i32 s49, s49, s46
	s_add_i32 s50, s51, s50
	s_mul_i32 s47, s47, s46
	s_add_i32 s50, s50, s49
	s_mul_hi_u32 s51, s43, s47
	s_mul_i32 s52, s43, s47
	s_mul_hi_u32 s47, s46, s47
	s_mul_hi_u32 s53, s46, s50
	s_mul_i32 s46, s46, s50
	s_mul_hi_u32 s49, s43, s50
	s_add_u32 s46, s47, s46
	s_addc_u32 s47, 0, s53
	s_add_u32 s46, s46, s52
	s_mul_i32 s50, s43, s50
	s_addc_u32 s46, s47, s51
	s_addc_u32 s47, s49, 0
	s_add_u32 s46, s46, s50
	s_addc_u32 s47, 0, s47
	v_add_co_u32 v1, s46, v1, s46
	s_cmp_lg_u32 s46, 0
	s_addc_u32 s43, s43, s47
	v_readfirstlane_b32 s46, v1
	s_mul_i32 s49, s24, s43
	s_mul_hi_u32 s47, s24, s43
	s_mul_hi_u32 s50, s25, s43
	s_mul_i32 s43, s25, s43
	s_mul_hi_u32 s51, s24, s46
	s_mul_hi_u32 s52, s25, s46
	s_mul_i32 s46, s25, s46
	s_add_u32 s49, s51, s49
	s_addc_u32 s47, 0, s47
	s_add_u32 s46, s49, s46
	s_addc_u32 s46, s47, s52
	s_addc_u32 s47, s50, 0
	s_add_u32 s46, s46, s43
	s_addc_u32 s47, 0, s47
	s_mul_hi_u32 s43, s44, s46
	s_mul_i32 s50, s44, s47
	s_mul_i32 s51, s44, s46
	s_add_i32 s43, s43, s50
	v_sub_co_u32 v1, s50, s24, s51
	s_mul_i32 s49, s45, s46
	s_add_i32 s43, s43, s49
	v_sub_co_u32 v2, s51, v1, s44
	s_sub_i32 s49, s25, s43
	s_cmp_lg_u32 s50, 0
	s_subb_u32 s49, s49, s45
	s_cmp_lg_u32 s51, 0
	v_readfirstlane_b32 s51, v2
	s_subb_u32 s49, s49, 0
	s_cmp_ge_u32 s49, s45
	s_cselect_b32 s52, -1, 0
	s_cmp_ge_u32 s51, s44
	s_cselect_b32 s51, -1, 0
	s_cmp_eq_u32 s49, s45
	s_cselect_b32 s49, s51, s52
	s_add_u32 s51, s46, 1
	s_addc_u32 s52, s47, 0
	s_add_u32 s53, s46, 2
	s_addc_u32 s54, s47, 0
	s_cmp_lg_u32 s49, 0
	s_cselect_b32 s49, s53, s51
	s_cselect_b32 s51, s54, s52
	s_cmp_lg_u32 s50, 0
	v_readfirstlane_b32 s50, v1
	s_subb_u32 s43, s25, s43
	s_cmp_ge_u32 s43, s45
	s_cselect_b32 s52, -1, 0
	s_cmp_ge_u32 s50, s44
	s_cselect_b32 s50, -1, 0
	s_cmp_eq_u32 s43, s45
	s_cselect_b32 s43, s50, s52
	s_cmp_lg_u32 s43, 0
	s_mov_b32 s43, 0
	s_cselect_b32 s47, s51, s47
	s_cselect_b32 s46, s49, s46
.LBB0_8:                                ;   in Loop: Header=BB0_6 Depth=1
	s_andn2_b32 vcc_lo, exec_lo, s43
	s_cbranch_vccnz .LBB0_10
; %bb.9:                                ;   in Loop: Header=BB0_6 Depth=1
	v_cvt_f32_u32_e32 v1, s44
	s_sub_i32 s46, 0, s44
	v_rcp_iflag_f32_e32 v1, v1
	v_mul_f32_e32 v1, 0x4f7ffffe, v1
	v_cvt_u32_f32_e32 v1, v1
	v_readfirstlane_b32 s43, v1
	s_mul_i32 s46, s46, s43
	s_mul_hi_u32 s46, s43, s46
	s_add_i32 s43, s43, s46
	s_mul_hi_u32 s43, s24, s43
	s_mul_i32 s46, s43, s44
	s_add_i32 s47, s43, 1
	s_sub_i32 s46, s24, s46
	s_sub_i32 s49, s46, s44
	s_cmp_ge_u32 s46, s44
	s_cselect_b32 s43, s47, s43
	s_cselect_b32 s46, s49, s46
	s_add_i32 s47, s43, 1
	s_cmp_ge_u32 s46, s44
	s_cselect_b32 s46, s47, s43
	s_mov_b32 s47, s42
.LBB0_10:                               ;   in Loop: Header=BB0_6 Depth=1
	s_load_dwordx2 s[50:51], s[38:39], 0x0
	s_load_dwordx2 s[52:53], s[36:37], 0x0
	s_mul_i32 s35, s44, s35
	s_mul_hi_u32 s43, s44, s34
	s_mul_i32 s49, s45, s34
	s_mul_i32 s45, s46, s45
	s_mul_hi_u32 s54, s46, s44
	s_mul_i32 s55, s47, s44
	s_add_i32 s35, s43, s35
	s_add_i32 s43, s54, s45
	s_mul_i32 s56, s46, s44
	s_add_i32 s35, s35, s49
	s_add_i32 s43, s43, s55
	s_sub_u32 s24, s24, s56
	s_subb_u32 s25, s25, s43
	s_mul_i32 s34, s44, s34
	s_waitcnt lgkmcnt(0)
	s_mul_i32 s43, s50, s25
	s_mul_hi_u32 s45, s50, s24
	s_mul_i32 s49, s51, s24
	s_add_i32 s43, s45, s43
	s_mul_i32 s50, s50, s24
	s_mul_i32 s25, s52, s25
	s_mul_hi_u32 s45, s52, s24
	s_add_i32 s43, s43, s49
	s_add_u32 s30, s50, s30
	s_addc_u32 s31, s43, s31
	s_add_i32 s25, s45, s25
	s_mul_i32 s43, s53, s24
	s_mul_i32 s24, s52, s24
	s_add_i32 s25, s25, s43
	s_add_u32 s4, s24, s4
	s_addc_u32 s5, s25, s5
	s_add_u32 s40, s40, 1
	s_addc_u32 s41, s41, 0
	s_add_u32 s36, s36, 8
	v_cmp_ge_u64_e64 s24, s[40:41], s[10:11]
	s_addc_u32 s37, s37, 0
	s_add_u32 s38, s38, 8
	s_addc_u32 s39, s39, 0
	s_add_u32 s12, s12, 8
	s_addc_u32 s13, s13, 0
	s_and_b32 vcc_lo, exec_lo, s24
	s_cbranch_vccnz .LBB0_12
; %bb.11:                               ;   in Loop: Header=BB0_6 Depth=1
	s_mov_b64 s[24:25], s[46:47]
	s_branch .LBB0_6
.LBB0_12:
	v_cmp_lt_u64_e64 s7, s[6:7], s[34:35]
	s_mov_b64 s[24:25], 0
	s_and_b32 vcc_lo, exec_lo, s7
	s_cbranch_vccnz .LBB0_14
; %bb.13:
	v_cvt_f32_u32_e32 v1, s34
	s_sub_i32 s12, 0, s34
	v_rcp_iflag_f32_e32 v1, v1
	v_mul_f32_e32 v1, 0x4f7ffffe, v1
	v_cvt_u32_f32_e32 v1, v1
	v_readfirstlane_b32 s7, v1
	s_mul_i32 s12, s12, s7
	s_mul_hi_u32 s12, s7, s12
	s_add_i32 s7, s7, s12
	s_mul_hi_u32 s7, s6, s7
	s_mul_i32 s12, s7, s34
	s_sub_i32 s6, s6, s12
	s_add_i32 s12, s7, 1
	s_sub_i32 s13, s6, s34
	s_cmp_ge_u32 s6, s34
	s_cselect_b32 s7, s12, s7
	s_cselect_b32 s6, s13, s6
	s_add_i32 s12, s7, 1
	s_cmp_ge_u32 s6, s34
	s_cselect_b32 s24, s12, s7
.LBB0_14:
	v_mul_hi_u32 v11, 0x1999999a, v0
	s_lshl_b64 s[10:11], s[10:11], 3
                                        ; implicit-def: $vgpr7
                                        ; implicit-def: $vgpr8
                                        ; implicit-def: $vgpr9
                                        ; implicit-def: $vgpr12
	s_add_u32 s6, s26, s10
	s_addc_u32 s7, s27, s11
	v_mul_u32_u24_e32 v1, 10, v11
	v_sub_nc_u32_e32 v10, v0, v1
	v_add_co_u32 v1, s12, s48, v10
	v_add_co_ci_u32_e64 v2, null, s33, 0, s12
	s_add_u32 s12, s48, 10
	s_addc_u32 s13, s33, 0
	v_cmp_le_u64_e64 s12, s[12:13], s[28:29]
	v_cmp_gt_u64_e32 vcc_lo, s[28:29], v[1:2]
                                        ; implicit-def: $vgpr2
	s_or_b32 s12, s12, vcc_lo
	s_and_saveexec_b32 s13, s12
	s_cbranch_execz .LBB0_16
; %bb.15:
	s_add_u32 s10, s14, s10
	s_addc_u32 s11, s15, s11
	v_mad_u64_u32 v[2:3], null, s22, v10, 0
	s_load_dwordx2 s[10:11], s[10:11], 0x0
	v_mad_u64_u32 v[4:5], null, s20, v11, 0
	v_add_nc_u32_e32 v15, 40, v11
	v_add_nc_u32_e32 v16, 0x50, v11
	;; [unrolled: 1-line block ×4, first 2 shown]
	v_mad_u64_u32 v[6:7], null, s20, v15, 0
	v_mad_u64_u32 v[12:13], null, s23, v10, v[3:4]
	v_mad_u64_u32 v[8:9], null, s20, v16, 0
	v_mad_u64_u32 v[13:14], null, s21, v11, v[5:6]
	v_mov_b32_e32 v3, v12
	s_waitcnt lgkmcnt(0)
	s_mul_i32 s11, s11, s24
	s_mul_hi_u32 s14, s10, s24
	s_mul_i32 s10, s10, s24
	s_add_i32 s11, s14, s11
	v_mov_b32_e32 v5, v13
	s_lshl_b64 s[10:11], s[10:11], 2
	v_lshlrev_b64 v[2:3], 2, v[2:3]
	v_mad_u64_u32 v[12:13], null, s21, v15, v[7:8]
	v_mov_b32_e32 v7, v9
	s_add_u32 s14, s16, s10
	v_mad_u64_u32 v[13:14], null, s20, v18, 0
	s_addc_u32 s15, s17, s11
	s_lshl_b64 s[10:11], s[30:31], 2
	v_mad_u64_u32 v[15:16], null, s21, v16, v[7:8]
	s_add_u32 s10, s14, s10
	s_addc_u32 s11, s15, s11
	v_mad_u64_u32 v[16:17], null, s20, v19, 0
	v_add_co_u32 v20, vcc_lo, s10, v2
	v_add_co_ci_u32_e32 v21, vcc_lo, s11, v3, vcc_lo
	v_lshlrev_b64 v[3:4], 2, v[4:5]
	v_mov_b32_e32 v2, v14
	v_mov_b32_e32 v7, v12
	;; [unrolled: 1-line block ×3, first 2 shown]
	v_mad_u64_u32 v[14:15], null, s21, v18, v[2:3]
	v_mov_b32_e32 v2, v17
	v_add_co_u32 v3, vcc_lo, v20, v3
	v_lshlrev_b64 v[5:6], 2, v[6:7]
	v_lshlrev_b64 v[7:8], 2, v[8:9]
	v_add_co_ci_u32_e32 v4, vcc_lo, v21, v4, vcc_lo
	v_mad_u64_u32 v[17:18], null, s21, v19, v[2:3]
	v_add_co_u32 v5, vcc_lo, v20, v5
	v_add_co_ci_u32_e32 v6, vcc_lo, v21, v6, vcc_lo
	v_lshlrev_b64 v[12:13], 2, v[13:14]
	v_add_co_u32 v14, vcc_lo, v20, v7
	v_add_co_ci_u32_e32 v15, vcc_lo, v21, v8, vcc_lo
	v_lshlrev_b64 v[7:8], 2, v[16:17]
	v_add_co_u32 v12, vcc_lo, v20, v12
	v_add_co_ci_u32_e32 v13, vcc_lo, v21, v13, vcc_lo
	v_add_co_u32 v16, vcc_lo, v20, v7
	v_add_co_ci_u32_e32 v17, vcc_lo, v21, v8, vcc_lo
	s_clause 0x4
	global_load_dword v2, v[3:4], off
	global_load_dword v7, v[5:6], off
	;; [unrolled: 1-line block ×5, first 2 shown]
.LBB0_16:
	s_or_b32 exec_lo, exec_lo, s13
	s_waitcnt vmcnt(1)
	v_add_f16_e32 v3, v8, v9
	s_waitcnt vmcnt(0)
	v_sub_f16_sdwa v15, v7, v12 dst_sel:DWORD dst_unused:UNUSED_PAD src0_sel:WORD_1 src1_sel:WORD_1
	v_sub_f16_sdwa v14, v8, v9 dst_sel:DWORD dst_unused:UNUSED_PAD src0_sel:WORD_1 src1_sel:WORD_1
	v_sub_f16_e32 v13, v12, v9
	v_sub_f16_e32 v16, v7, v8
	v_fma_f16 v6, -0.5, v3, v2
	v_add_f16_e32 v4, v7, v12
	v_pk_add_f16 v17, v2, v7
	v_add_f16_sdwa v18, v8, v9 dst_sel:DWORD dst_unused:UNUSED_PAD src0_sel:WORD_1 src1_sel:WORD_1
	v_add_f16_e32 v16, v16, v13
	v_fmamk_f16 v3, v15, 0x3b9c, v6
	v_fmac_f16_e32 v6, 0xbb9c, v15
	v_fma_f16 v5, -0.5, v4, v2
	v_lshrrev_b32_e32 v13, 16, v2
	v_sub_f16_e32 v2, v9, v12
	v_fmac_f16_e32 v3, 0x38b4, v14
	v_fmac_f16_e32 v6, 0xb8b4, v14
	v_pk_add_f16 v17, v17, v8
	v_fmamk_f16 v4, v14, 0xbb9c, v5
	v_fmac_f16_e32 v5, 0x3b9c, v14
	v_fmac_f16_e32 v3, 0x34f2, v16
	;; [unrolled: 1-line block ×3, first 2 shown]
	v_sub_f16_e32 v16, v8, v7
	v_fma_f16 v14, -0.5, v18, v13
	v_sub_f16_e32 v18, v7, v12
	v_fmac_f16_e32 v4, 0x38b4, v15
	v_fmac_f16_e32 v5, 0xb8b4, v15
	v_add_f16_e32 v2, v16, v2
	v_pk_add_f16 v16, v17, v9
	v_add_f16_sdwa v17, v7, v12 dst_sel:DWORD dst_unused:UNUSED_PAD src0_sel:WORD_1 src1_sel:WORD_1
	v_sub_f16_e32 v19, v8, v9
	v_fmamk_f16 v15, v18, 0xbb9c, v14
	v_sub_f16_sdwa v20, v12, v9 dst_sel:DWORD dst_unused:UNUSED_PAD src0_sel:WORD_1 src1_sel:WORD_1
	v_fmac_f16_e32 v4, 0x34f2, v2
	v_fmac_f16_e32 v13, -0.5, v17
	v_sub_f16_sdwa v17, v7, v8 dst_sel:DWORD dst_unused:UNUSED_PAD src0_sel:WORD_1 src1_sel:WORD_1
	v_fmac_f16_e32 v5, 0x34f2, v2
	v_pk_add_f16 v2, v16, v12
	v_sub_f16_sdwa v7, v8, v7 dst_sel:DWORD dst_unused:UNUSED_PAD src0_sel:WORD_1 src1_sel:WORD_1
	v_fmamk_f16 v16, v19, 0x3b9c, v13
	v_sub_f16_sdwa v8, v9, v12 dst_sel:DWORD dst_unused:UNUSED_PAD src0_sel:WORD_1 src1_sel:WORD_1
	v_fmac_f16_e32 v13, 0xbb9c, v19
	s_load_dwordx2 s[6:7], s[6:7], 0x0
	v_fmac_f16_e32 v15, 0xb8b4, v19
	v_fmac_f16_e32 v14, 0x3b9c, v18
	v_add_f16_e32 v9, v17, v20
	v_fmac_f16_e32 v16, 0xb8b4, v18
	v_add_f16_e32 v8, v7, v8
	v_fmac_f16_e32 v13, 0x38b4, v18
	v_fmac_f16_e32 v14, 0x38b4, v19
	v_mad_u32_u24 v7, 0xc8, v11, 0
	v_fmac_f16_e32 v15, 0x34f2, v9
	v_fmac_f16_e32 v16, 0x34f2, v8
	;; [unrolled: 1-line block ×4, first 2 shown]
	v_lshl_add_u32 v8, v10, 2, v7
	v_pack_b32_f16 v9, v3, v15
	v_pack_b32_f16 v12, v4, v16
	;; [unrolled: 1-line block ×4, first 2 shown]
	ds_write2_b32 v8, v2, v9 offset1:10
	ds_write2_b32 v8, v12, v17 offset0:20 offset1:30
	v_cmp_gt_u32_e32 vcc_lo, 0xfa, v0
	v_lshlrev_b32_e32 v12, 2, v10
	ds_write_b32 v8, v18 offset:160
	s_waitcnt lgkmcnt(0)
	s_barrier
	buffer_gl0_inv
                                        ; implicit-def: $vgpr18
                                        ; implicit-def: $vgpr9
                                        ; implicit-def: $vgpr19
                                        ; implicit-def: $vgpr17
	s_and_saveexec_b32 s10, vcc_lo
	s_cbranch_execz .LBB0_18
; %bb.17:
	v_mul_i32_i24_e32 v2, 0xffffff60, v11
	v_add3_u32 v4, v7, v2, v12
	v_add_nc_u32_e32 v5, 0x7c0, v4
	v_add_nc_u32_e32 v6, 0xfa0, v4
	;; [unrolled: 1-line block ×3, first 2 shown]
	ds_read2_b32 v[2:3], v4 offset1:250
	ds_read2_b32 v[4:5], v5 offset0:4 offset1:254
	ds_read2_b32 v[6:7], v6 offset1:250
	ds_read2_b32 v[8:9], v8 offset0:4 offset1:254
	s_waitcnt lgkmcnt(3)
	v_lshrrev_b32_e32 v15, 16, v3
	s_waitcnt lgkmcnt(2)
	v_lshrrev_b32_e32 v16, 16, v4
	v_lshrrev_b32_e32 v13, 16, v5
	s_waitcnt lgkmcnt(1)
	v_lshrrev_b32_e32 v14, 16, v6
	;; [unrolled: 3-line block ×3, first 2 shown]
	v_lshrrev_b32_e32 v18, 16, v9
.LBB0_18:
	s_or_b32 exec_lo, exec_lo, s10
	s_barrier
	buffer_gl0_inv
	s_and_saveexec_b32 s10, vcc_lo
	s_cbranch_execz .LBB0_20
; %bb.19:
	v_mul_hi_u32 v20, 0x33333334, v11
	v_mul_lo_u16 v28, v11, 52
	v_mov_b32_e32 v29, 0xffff
	v_and_b32_sdwa v28, v29, v28 dst_sel:DWORD dst_unused:UNUSED_PAD src0_sel:DWORD src1_sel:BYTE_1
	v_mul_u32_u24_e32 v20, 5, v20
	v_mul_u32_u24_e32 v28, 40, v28
	v_sub_nc_u32_e32 v27, v11, v20
	v_mul_u32_u24_e32 v20, 7, v27
	v_or_b32_e32 v27, v28, v27
	v_lshrrev_b32_e32 v28, 16, v2
	v_lshlrev_b32_e32 v24, 2, v20
	v_mul_i32_i24_e32 v27, 40, v27
	s_clause 0x1
	global_load_dwordx4 v[20:23], v24, s[8:9]
	global_load_dwordx3 v[24:26], v24, s[8:9] offset:16
	v_add3_u32 v27, 0, v27, v12
	s_waitcnt vmcnt(1)
	v_mul_f16_sdwa v29, v14, v23 dst_sel:DWORD dst_unused:UNUSED_PAD src0_sel:DWORD src1_sel:WORD_1
	v_mul_f16_sdwa v30, v4, v21 dst_sel:DWORD dst_unused:UNUSED_PAD src0_sel:DWORD src1_sel:WORD_1
	s_waitcnt vmcnt(0)
	v_mul_f16_sdwa v31, v8, v25 dst_sel:DWORD dst_unused:UNUSED_PAD src0_sel:DWORD src1_sel:WORD_1
	v_mul_f16_sdwa v32, v15, v20 dst_sel:DWORD dst_unused:UNUSED_PAD src0_sel:DWORD src1_sel:WORD_1
	;; [unrolled: 1-line block ×12, first 2 shown]
	v_fma_f16 v6, v6, v23, -v29
	v_fmac_f16_e32 v30, v16, v21
	v_fmac_f16_e32 v31, v19, v25
	v_fma_f16 v3, v3, v20, -v32
	v_fma_f16 v7, v7, v24, -v33
	v_fmac_f16_e32 v34, v13, v22
	v_fmac_f16_e32 v35, v18, v26
	;; [unrolled: 1-line block ×4, first 2 shown]
	v_fma_f16 v5, v5, v22, -v38
	v_fma_f16 v9, v9, v26, -v39
	v_fmac_f16_e32 v40, v14, v23
	v_fma_f16 v4, v4, v21, -v41
	v_fma_f16 v8, v8, v25, -v42
	v_sub_f16_e32 v6, v2, v6
	v_sub_f16_e32 v13, v30, v31
	;; [unrolled: 1-line block ×10, first 2 shown]
	v_add_f16_e32 v20, v15, v9
	v_fma_f16 v2, v2, 2.0, -v6
	v_add_f16_e32 v21, v16, v8
	v_fma_f16 v4, v4, 2.0, -v8
	v_fma_f16 v8, v36, 2.0, -v15
	;; [unrolled: 1-line block ×7, first 2 shown]
	v_fmamk_f16 v9, v19, 0x39a8, v18
	v_sub_f16_e32 v4, v2, v4
	v_sub_f16_e32 v14, v8, v14
	;; [unrolled: 1-line block ×4, first 2 shown]
	v_fma_f16 v6, v6, 2.0, -v18
	v_fma_f16 v7, v7, 2.0, -v19
	;; [unrolled: 1-line block ×4, first 2 shown]
	v_fmamk_f16 v23, v20, 0x39a8, v21
	v_fmac_f16_e32 v9, 0xb9a8, v20
	v_add_f16_e32 v20, v13, v5
	v_fmamk_f16 v24, v7, 0xb9a8, v6
	v_fmamk_f16 v25, v15, 0xb9a8, v16
	v_fma_f16 v2, v2, 2.0, -v4
	v_fma_f16 v3, v3, 2.0, -v5
	;; [unrolled: 1-line block ×4, first 2 shown]
	v_fmac_f16_e32 v23, 0x39a8, v19
	v_sub_f16_e32 v19, v4, v14
	v_fmac_f16_e32 v24, 0xb9a8, v15
	v_fmac_f16_e32 v25, 0x39a8, v7
	v_sub_f16_e32 v3, v2, v3
	v_sub_f16_e32 v7, v5, v8
	v_fma_f16 v14, v18, 2.0, -v9
	v_fma_f16 v18, v21, 2.0, -v23
	;; [unrolled: 1-line block ×8, first 2 shown]
	v_pack_b32_f16 v4, v4, v8
	v_pack_b32_f16 v8, v14, v18
	v_pack_b32_f16 v3, v3, v7
	v_pack_b32_f16 v7, v24, v25
	v_pack_b32_f16 v2, v2, v5
	v_pack_b32_f16 v5, v6, v15
	v_add_nc_u32_e32 v17, 0x400, v27
	v_pack_b32_f16 v13, v19, v20
	v_pack_b32_f16 v6, v9, v23
	ds_write2_b32 v27, v4, v8 offset0:100 offset1:150
	ds_write2_b32 v27, v3, v7 offset0:200 offset1:250
	ds_write2_b32 v27, v2, v5 offset1:50
	ds_write2_b32 v17, v13, v6 offset0:44 offset1:94
.LBB0_20:
	s_or_b32 exec_lo, exec_lo, s10
	s_waitcnt lgkmcnt(0)
	s_barrier
	buffer_gl0_inv
	s_and_saveexec_b32 s10, s12
	s_cbranch_execz .LBB0_22
; %bb.21:
	v_mul_hi_u32 v2, 0x6666667, v11
	v_mad_u64_u32 v[6:7], null, s2, v10, 0
	v_mul_u32_u24_e32 v8, 40, v11
	v_mul_hi_u32_u24_e32 v0, 0xa3d70b, v0
	s_mul_i32 s7, s7, s24
	v_mul_lo_u32 v16, 0xffffffd8, v1
	s_add_i32 s2, 0, 0x1f40
	v_mul_u32_u24_e32 v2, 40, v2
	v_add3_u32 v20, 0, v8, v12
	v_mad_u64_u32 v[7:8], null, s3, v10, v[7:8]
	v_sub_nc_u32_e32 v9, v11, v2
	v_lshlrev_b64 v[6:7], 2, v[6:7]
	v_lshlrev_b32_e32 v2, 4, v9
	v_add_nc_u32_e32 v8, 0xa0, v9
	v_mad_u32_u24 v17, 0xc8, v0, v9
	v_mul_lo_u32 v9, v9, v1
	global_load_dwordx4 v[2:5], v2, s[8:9] offset:140
	s_mul_hi_u32 s8, s6, s24
	v_mul_lo_u32 v18, v8, v1
	v_add_nc_u32_e32 v19, 40, v17
	s_mul_i32 s6, s6, s24
	s_add_i32 s7, s8, s7
	v_add_nc_u32_e32 v24, 0x50, v17
	v_add_nc_u32_e32 v25, 0x78, v17
	s_lshl_b64 s[6:7], s[6:7], 2
	v_add_nc_u32_e32 v26, 0xa0, v17
	v_mad_u64_u32 v[0:1], null, s0, v17, 0
	v_and_b32_e32 v27, 31, v9
	v_lshrrev_b32_e32 v28, 8, v9
	v_lshrrev_b32_e32 v29, 3, v9
	v_mad_u64_u32 v[8:9], null, s0, v19, 0
	s_add_u32 s6, s18, s6
	s_addc_u32 s7, s19, s7
	s_lshl_b64 s[4:5], s[4:5], 2
	v_mad_u64_u32 v[10:11], null, s0, v24, 0
	v_mad_u64_u32 v[12:13], null, s0, v25, 0
	v_lshrrev_b32_e32 v30, 8, v18
	v_and_b32_e32 v31, 31, v18
	v_lshrrev_b32_e32 v32, 3, v18
	v_add_nc_u32_e32 v18, v18, v16
	s_add_u32 s4, s6, s4
	v_mad_u64_u32 v[14:15], null, s0, v26, 0
	s_addc_u32 s3, s7, s5
	v_add_co_u32 v33, vcc_lo, s4, v6
	v_add_co_ci_u32_e32 v34, vcc_lo, s3, v7, vcc_lo
	v_lshrrev_b32_e32 v35, 8, v18
	v_and_b32_e32 v36, 31, v18
	v_lshrrev_b32_e32 v37, 3, v18
	v_add_nc_u32_e32 v18, v18, v16
	v_and_b32_e32 v30, 0x7c, v30
	v_and_b32_e32 v32, 0x7c, v32
	v_lshl_add_u32 v31, v31, 2, 0
	ds_read_b32 v21, v20 offset:1600
	ds_read_b32 v22, v20 offset:3200
	ds_read_b32 v23, v20
	v_add_nc_u32_e32 v41, v18, v16
	v_lshrrev_b32_e32 v38, 8, v18
	v_and_b32_e32 v39, 31, v18
	v_lshrrev_b32_e32 v40, 3, v18
	v_lshl_add_u32 v27, v27, 2, 0
	v_and_b32_e32 v28, 0x7c, v28
	v_and_b32_e32 v29, 0x7c, v29
	v_add_nc_u32_e32 v28, s2, v28
	v_add_nc_u32_e32 v29, s2, v29
	s_waitcnt vmcnt(0)
	v_mad_u64_u32 v[6:7], null, s1, v17, v[1:2]
	v_mov_b32_e32 v1, v9
	v_mov_b32_e32 v7, v11
	;; [unrolled: 1-line block ×4, first 2 shown]
	v_add_nc_u32_e32 v13, s2, v30
	v_mad_u64_u32 v[15:16], null, s1, v19, v[1:2]
	v_mad_u64_u32 v[16:17], null, s1, v24, v[7:8]
	;; [unrolled: 1-line block ×4, first 2 shown]
	v_mov_b32_e32 v1, v6
	v_and_b32_e32 v6, 0x7c, v38
	v_and_b32_e32 v7, 0x7c, v40
	v_mov_b32_e32 v9, v15
	v_add_nc_u32_e32 v30, s2, v32
	v_and_b32_e32 v32, 0x7c, v35
	v_lshlrev_b64 v[0:1], 2, v[0:1]
	v_lshl_add_u32 v35, v36, 2, 0
	v_and_b32_e32 v36, 0x7c, v37
	v_mov_b32_e32 v11, v16
	ds_read_b32 v37, v20 offset:6400
	ds_read_b32 v19, v13 offset:256
	ds_read_u16 v24, v31 offset:8000
	ds_read_b32 v25, v20 offset:4800
	ds_read_u16 v20, v20 offset:2
	v_mov_b32_e32 v13, v17
	v_mov_b32_e32 v15, v18
	v_lshl_add_u32 v38, v39, 2, 0
	v_lshrrev_b32_e32 v39, 8, v41
	v_add_nc_u32_e32 v16, s2, v6
	v_add_nc_u32_e32 v17, s2, v7
	v_lshlrev_b64 v[6:7], 2, v[8:9]
	v_add_nc_u32_e32 v32, s2, v32
	v_and_b32_e32 v40, 31, v41
	v_lshrrev_b32_e32 v41, 3, v41
	v_add_nc_u32_e32 v36, s2, v36
	v_lshlrev_b64 v[8:9], 2, v[10:11]
	v_add_co_u32 v0, vcc_lo, v33, v0
	v_lshlrev_b64 v[10:11], 2, v[12:13]
	v_lshlrev_b64 v[12:13], 2, v[14:15]
	ds_read_b32 v14, v30 offset:128
	ds_read_b32 v15, v27 offset:8000
	ds_read_u16 v27, v27 offset:8002
	ds_read_b32 v30, v32 offset:256
	ds_read_b32 v32, v35 offset:8000
	;; [unrolled: 1-line block ×6, first 2 shown]
	v_and_b32_e32 v18, 0x7c, v39
	v_add_co_ci_u32_e32 v1, vcc_lo, v34, v1, vcc_lo
	v_add_co_u32 v6, vcc_lo, v33, v6
	v_lshl_add_u32 v39, v40, 2, 0
	v_and_b32_e32 v40, 0x7c, v41
	v_add_co_ci_u32_e32 v7, vcc_lo, v34, v7, vcc_lo
	v_add_co_u32 v8, vcc_lo, v33, v8
	v_add_nc_u32_e32 v18, s2, v18
	v_add_co_ci_u32_e32 v9, vcc_lo, v34, v9, vcc_lo
	v_add_nc_u32_e32 v38, s2, v40
	v_add_co_u32 v10, vcc_lo, v33, v10
	v_add_co_ci_u32_e32 v11, vcc_lo, v34, v11, vcc_lo
	v_add_co_u32 v12, vcc_lo, v33, v12
	ds_read_b32 v18, v18 offset:256
	ds_read_b32 v39, v39 offset:8000
	;; [unrolled: 1-line block ×5, first 2 shown]
	v_add_co_ci_u32_e32 v13, vcc_lo, v34, v13, vcc_lo
	s_waitcnt lgkmcnt(12)
	v_lshrrev_b32_e32 v33, 16, v15
	v_mul_f16_sdwa v34, v24, v14 dst_sel:DWORD dst_unused:UNUSED_PAD src0_sel:DWORD src1_sel:WORD_1
	s_waitcnt lgkmcnt(8)
	v_mul_f16_sdwa v41, v32, v35 dst_sel:DWORD dst_unused:UNUSED_PAD src0_sel:DWORD src1_sel:WORD_1
	s_waitcnt lgkmcnt(5)
	v_mul_f16_sdwa v44, v36, v17 dst_sel:DWORD dst_unused:UNUSED_PAD src0_sel:DWORD src1_sel:WORD_1
	v_lshrrev_b32_e32 v26, 16, v21
	v_mul_f16_sdwa v40, v33, v14 dst_sel:DWORD dst_unused:UNUSED_PAD src0_sel:DWORD src1_sel:WORD_1
	v_fmac_f16_e32 v34, v33, v14
	v_lshrrev_b32_e32 v33, 16, v32
	v_lshrrev_b32_e32 v31, 16, v22
	;; [unrolled: 1-line block ×3, first 2 shown]
	v_fma_f16 v14, v24, v14, -v40
	v_mul_f16_sdwa v24, v34, v19 dst_sel:DWORD dst_unused:UNUSED_PAD src0_sel:DWORD src1_sel:WORD_1
	v_mul_f16_sdwa v40, v33, v35 dst_sel:DWORD dst_unused:UNUSED_PAD src0_sel:DWORD src1_sel:WORD_1
	v_fmac_f16_e32 v41, v33, v35
	v_lshrrev_b32_e32 v33, 16, v36
	s_waitcnt lgkmcnt(2)
	v_mul_f16_sdwa v45, v39, v38 dst_sel:DWORD dst_unused:UNUSED_PAD src0_sel:DWORD src1_sel:WORD_1
	v_fma_f16 v24, v19, v14, -v24
	v_mul_f16_sdwa v14, v14, v19 dst_sel:DWORD dst_unused:UNUSED_PAD src0_sel:DWORD src1_sel:WORD_1
	v_fma_f16 v32, v32, v35, -v40
	v_mul_f16_sdwa v35, v41, v30 dst_sel:DWORD dst_unused:UNUSED_PAD src0_sel:DWORD src1_sel:WORD_1
	v_mul_f16_sdwa v40, v33, v17 dst_sel:DWORD dst_unused:UNUSED_PAD src0_sel:DWORD src1_sel:WORD_1
	v_fmac_f16_e32 v44, v33, v17
	v_lshrrev_b32_e32 v33, 16, v39
	s_waitcnt lgkmcnt(0)
	v_mul_f16_sdwa v46, v27, v29 dst_sel:DWORD dst_unused:UNUSED_PAD src0_sel:DWORD src1_sel:WORD_1
	v_mul_f16_sdwa v47, v15, v29 dst_sel:DWORD dst_unused:UNUSED_PAD src0_sel:DWORD src1_sel:WORD_1
	v_fmac_f16_e32 v14, v19, v34
	v_fma_f16 v19, v30, v32, -v35
	v_mul_f16_sdwa v35, v33, v38 dst_sel:DWORD dst_unused:UNUSED_PAD src0_sel:DWORD src1_sel:WORD_1
	v_mul_f16_sdwa v32, v32, v30 dst_sel:DWORD dst_unused:UNUSED_PAD src0_sel:DWORD src1_sel:WORD_1
	v_fma_f16 v17, v36, v17, -v40
	v_mul_f16_sdwa v34, v44, v16 dst_sel:DWORD dst_unused:UNUSED_PAD src0_sel:DWORD src1_sel:WORD_1
	v_fmac_f16_e32 v45, v33, v38
	v_fma_f16 v15, v15, v29, -v46
	v_fmac_f16_e32 v47, v27, v29
	v_fma_f16 v29, v39, v38, -v35
	v_lshrrev_b32_e32 v43, 16, v25
	v_fmac_f16_e32 v32, v30, v41
	v_fma_f16 v27, v16, v17, -v34
	v_mul_f16_sdwa v17, v17, v16 dst_sel:DWORD dst_unused:UNUSED_PAD src0_sel:DWORD src1_sel:WORD_1
	v_mul_f16_sdwa v30, v45, v18 dst_sel:DWORD dst_unused:UNUSED_PAD src0_sel:DWORD src1_sel:WORD_1
	;; [unrolled: 1-line block ×5, first 2 shown]
	v_fmac_f16_e32 v17, v16, v44
	v_fma_f16 v16, v18, v29, -v30
	v_fma_f16 v15, v28, v15, -v33
	v_fmac_f16_e32 v34, v28, v47
	v_fmac_f16_e32 v35, v18, v45
	v_mul_f16_sdwa v18, v2, v21 dst_sel:DWORD dst_unused:UNUSED_PAD src0_sel:WORD_1 src1_sel:DWORD
	v_mul_f16_sdwa v28, v3, v22 dst_sel:DWORD dst_unused:UNUSED_PAD src0_sel:WORD_1 src1_sel:DWORD
	;; [unrolled: 1-line block ×8, first 2 shown]
	v_fmac_f16_e32 v18, v2, v26
	v_fmac_f16_e32 v28, v3, v31
	;; [unrolled: 1-line block ×4, first 2 shown]
	v_fma_f16 v3, v3, v22, -v33
	v_fma_f16 v4, v4, v25, -v36
	v_fma_f16 v2, v2, v21, -v38
	v_fma_f16 v5, v5, v37, -v39
	v_sub_f16_e32 v21, v18, v28
	v_sub_f16_e32 v22, v29, v30
	v_add_f16_e32 v26, v28, v30
	v_sub_f16_e32 v33, v2, v3
	v_sub_f16_e32 v36, v5, v4
	v_add_f16_e32 v37, v3, v4
	v_add_f16_e32 v42, v18, v29
	;; [unrolled: 1-line block ×3, first 2 shown]
	v_sub_f16_e32 v31, v2, v5
	v_sub_f16_e32 v38, v18, v29
	;; [unrolled: 1-line block ×4, first 2 shown]
	v_add_f16_e32 v18, v20, v18
	v_add_f16_e32 v2, v2, v23
	;; [unrolled: 1-line block ×3, first 2 shown]
	v_fma_f16 v22, -0.5, v26, v20
	v_add_f16_e32 v26, v33, v36
	v_fma_f16 v33, -0.5, v37, v23
	v_sub_f16_e32 v25, v3, v4
	v_sub_f16_e32 v39, v28, v30
	;; [unrolled: 1-line block ×3, first 2 shown]
	v_fma_f16 v20, -0.5, v42, v20
	v_fma_f16 v23, -0.5, v45, v23
	v_add_f16_e32 v18, v18, v28
	v_add_f16_e32 v2, v2, v3
	v_fmamk_f16 v3, v31, 0x3b9c, v22
	v_fmamk_f16 v28, v38, 0xbb9c, v33
	v_fmac_f16_e32 v22, 0xbb9c, v31
	v_fmac_f16_e32 v33, 0x3b9c, v38
	v_sub_f16_e32 v44, v4, v5
	v_add_f16_e32 v36, v40, v41
	v_fmamk_f16 v40, v25, 0xbb9c, v20
	v_fmamk_f16 v41, v39, 0x3b9c, v23
	v_fmac_f16_e32 v20, 0x3b9c, v25
	v_fmac_f16_e32 v23, 0xbb9c, v39
	v_add_f16_e32 v18, v18, v30
	v_add_f16_e32 v2, v2, v4
	v_fmac_f16_e32 v28, 0xb8b4, v39
	v_fmac_f16_e32 v22, 0xb8b4, v25
	;; [unrolled: 1-line block ×3, first 2 shown]
	v_add_f16_e32 v37, v43, v44
	v_fmac_f16_e32 v20, 0xb8b4, v31
	v_fmac_f16_e32 v23, 0x38b4, v38
	;; [unrolled: 1-line block ×5, first 2 shown]
	v_add_f16_e32 v4, v18, v29
	v_add_f16_e32 v2, v2, v5
	v_fmac_f16_e32 v28, 0x34f2, v26
	v_fmac_f16_e32 v22, 0x34f2, v21
	;; [unrolled: 1-line block ×8, first 2 shown]
	v_mul_f16_e32 v5, v2, v34
	v_mul_f16_e32 v18, v4, v34
	;; [unrolled: 1-line block ×10, first 2 shown]
	v_fmac_f16_e32 v5, v4, v15
	v_fma_f16 v2, v2, v15, -v18
	v_fmac_f16_e32 v21, v3, v24
	v_fmac_f16_e32 v30, v22, v16
	v_fma_f16 v3, v33, v16, -v31
	v_fmac_f16_e32 v29, v20, v27
	v_fma_f16 v4, v23, v27, -v17
	;; [unrolled: 2-line block ×3, first 2 shown]
	v_fma_f16 v14, v28, v24, -v14
	v_pack_b32_f16 v2, v2, v5
	v_pack_b32_f16 v3, v3, v30
	;; [unrolled: 1-line block ×5, first 2 shown]
	global_store_dword v[0:1], v2, off
	global_store_dword v[6:7], v3, off
	;; [unrolled: 1-line block ×5, first 2 shown]
.LBB0_22:
	s_endpgm
	.section	.rodata,"a",@progbits
	.p2align	6, 0x0
	.amdhsa_kernel fft_rtc_fwd_len200_factors_5_8_5_wgs_400_tpt_40_half_op_CI_CI_sbcc_twdbase5_3step_dirReg
		.amdhsa_group_segment_fixed_size 0
		.amdhsa_private_segment_fixed_size 0
		.amdhsa_kernarg_size 112
		.amdhsa_user_sgpr_count 6
		.amdhsa_user_sgpr_private_segment_buffer 1
		.amdhsa_user_sgpr_dispatch_ptr 0
		.amdhsa_user_sgpr_queue_ptr 0
		.amdhsa_user_sgpr_kernarg_segment_ptr 1
		.amdhsa_user_sgpr_dispatch_id 0
		.amdhsa_user_sgpr_flat_scratch_init 0
		.amdhsa_user_sgpr_private_segment_size 0
		.amdhsa_wavefront_size32 1
		.amdhsa_uses_dynamic_stack 0
		.amdhsa_system_sgpr_private_segment_wavefront_offset 0
		.amdhsa_system_sgpr_workgroup_id_x 1
		.amdhsa_system_sgpr_workgroup_id_y 0
		.amdhsa_system_sgpr_workgroup_id_z 0
		.amdhsa_system_sgpr_workgroup_info 0
		.amdhsa_system_vgpr_workitem_id 0
		.amdhsa_next_free_vgpr 48
		.amdhsa_next_free_sgpr 57
		.amdhsa_reserve_vcc 1
		.amdhsa_reserve_flat_scratch 0
		.amdhsa_float_round_mode_32 0
		.amdhsa_float_round_mode_16_64 0
		.amdhsa_float_denorm_mode_32 3
		.amdhsa_float_denorm_mode_16_64 3
		.amdhsa_dx10_clamp 1
		.amdhsa_ieee_mode 1
		.amdhsa_fp16_overflow 0
		.amdhsa_workgroup_processor_mode 1
		.amdhsa_memory_ordered 1
		.amdhsa_forward_progress 0
		.amdhsa_shared_vgpr_count 0
		.amdhsa_exception_fp_ieee_invalid_op 0
		.amdhsa_exception_fp_denorm_src 0
		.amdhsa_exception_fp_ieee_div_zero 0
		.amdhsa_exception_fp_ieee_overflow 0
		.amdhsa_exception_fp_ieee_underflow 0
		.amdhsa_exception_fp_ieee_inexact 0
		.amdhsa_exception_int_div_zero 0
	.end_amdhsa_kernel
	.text
.Lfunc_end0:
	.size	fft_rtc_fwd_len200_factors_5_8_5_wgs_400_tpt_40_half_op_CI_CI_sbcc_twdbase5_3step_dirReg, .Lfunc_end0-fft_rtc_fwd_len200_factors_5_8_5_wgs_400_tpt_40_half_op_CI_CI_sbcc_twdbase5_3step_dirReg
                                        ; -- End function
	.section	.AMDGPU.csdata,"",@progbits
; Kernel info:
; codeLenInByte = 5288
; NumSgprs: 59
; NumVgprs: 48
; ScratchSize: 0
; MemoryBound: 0
; FloatMode: 240
; IeeeMode: 1
; LDSByteSize: 0 bytes/workgroup (compile time only)
; SGPRBlocks: 7
; VGPRBlocks: 5
; NumSGPRsForWavesPerEU: 59
; NumVGPRsForWavesPerEU: 48
; Occupancy: 13
; WaveLimiterHint : 1
; COMPUTE_PGM_RSRC2:SCRATCH_EN: 0
; COMPUTE_PGM_RSRC2:USER_SGPR: 6
; COMPUTE_PGM_RSRC2:TRAP_HANDLER: 0
; COMPUTE_PGM_RSRC2:TGID_X_EN: 1
; COMPUTE_PGM_RSRC2:TGID_Y_EN: 0
; COMPUTE_PGM_RSRC2:TGID_Z_EN: 0
; COMPUTE_PGM_RSRC2:TIDIG_COMP_CNT: 0
	.text
	.p2alignl 6, 3214868480
	.fill 48, 4, 3214868480
	.type	__hip_cuid_e420b740bebcfe92,@object ; @__hip_cuid_e420b740bebcfe92
	.section	.bss,"aw",@nobits
	.globl	__hip_cuid_e420b740bebcfe92
__hip_cuid_e420b740bebcfe92:
	.byte	0                               ; 0x0
	.size	__hip_cuid_e420b740bebcfe92, 1

	.ident	"AMD clang version 19.0.0git (https://github.com/RadeonOpenCompute/llvm-project roc-6.4.0 25133 c7fe45cf4b819c5991fe208aaa96edf142730f1d)"
	.section	".note.GNU-stack","",@progbits
	.addrsig
	.addrsig_sym __hip_cuid_e420b740bebcfe92
	.amdgpu_metadata
---
amdhsa.kernels:
  - .args:
      - .actual_access:  read_only
        .address_space:  global
        .offset:         0
        .size:           8
        .value_kind:     global_buffer
      - .address_space:  global
        .offset:         8
        .size:           8
        .value_kind:     global_buffer
      - .offset:         16
        .size:           8
        .value_kind:     by_value
      - .actual_access:  read_only
        .address_space:  global
        .offset:         24
        .size:           8
        .value_kind:     global_buffer
      - .actual_access:  read_only
        .address_space:  global
        .offset:         32
        .size:           8
        .value_kind:     global_buffer
      - .actual_access:  read_only
        .address_space:  global
        .offset:         40
        .size:           8
        .value_kind:     global_buffer
      - .offset:         48
        .size:           8
        .value_kind:     by_value
      - .actual_access:  read_only
        .address_space:  global
        .offset:         56
        .size:           8
        .value_kind:     global_buffer
      - .actual_access:  read_only
        .address_space:  global
        .offset:         64
        .size:           8
        .value_kind:     global_buffer
      - .offset:         72
        .size:           4
        .value_kind:     by_value
      - .actual_access:  read_only
        .address_space:  global
        .offset:         80
        .size:           8
        .value_kind:     global_buffer
      - .actual_access:  read_only
        .address_space:  global
        .offset:         88
        .size:           8
        .value_kind:     global_buffer
      - .actual_access:  read_only
        .address_space:  global
        .offset:         96
        .size:           8
        .value_kind:     global_buffer
      - .actual_access:  write_only
        .address_space:  global
        .offset:         104
        .size:           8
        .value_kind:     global_buffer
    .group_segment_fixed_size: 0
    .kernarg_segment_align: 8
    .kernarg_segment_size: 112
    .language:       OpenCL C
    .language_version:
      - 2
      - 0
    .max_flat_workgroup_size: 400
    .name:           fft_rtc_fwd_len200_factors_5_8_5_wgs_400_tpt_40_half_op_CI_CI_sbcc_twdbase5_3step_dirReg
    .private_segment_fixed_size: 0
    .sgpr_count:     59
    .sgpr_spill_count: 0
    .symbol:         fft_rtc_fwd_len200_factors_5_8_5_wgs_400_tpt_40_half_op_CI_CI_sbcc_twdbase5_3step_dirReg.kd
    .uniform_work_group_size: 1
    .uses_dynamic_stack: false
    .vgpr_count:     48
    .vgpr_spill_count: 0
    .wavefront_size: 32
    .workgroup_processor_mode: 1
amdhsa.target:   amdgcn-amd-amdhsa--gfx1030
amdhsa.version:
  - 1
  - 2
...

	.end_amdgpu_metadata
